;; amdgpu-corpus repo=ROCm/rocFFT kind=compiled arch=gfx1100 opt=O3
	.text
	.amdgcn_target "amdgcn-amd-amdhsa--gfx1100"
	.amdhsa_code_object_version 6
	.protected	fft_rtc_back_len1014_factors_13_6_13_wgs_156_tpt_78_half_ip_CI_unitstride_sbrr_dirReg ; -- Begin function fft_rtc_back_len1014_factors_13_6_13_wgs_156_tpt_78_half_ip_CI_unitstride_sbrr_dirReg
	.globl	fft_rtc_back_len1014_factors_13_6_13_wgs_156_tpt_78_half_ip_CI_unitstride_sbrr_dirReg
	.p2align	8
	.type	fft_rtc_back_len1014_factors_13_6_13_wgs_156_tpt_78_half_ip_CI_unitstride_sbrr_dirReg,@function
fft_rtc_back_len1014_factors_13_6_13_wgs_156_tpt_78_half_ip_CI_unitstride_sbrr_dirReg: ; @fft_rtc_back_len1014_factors_13_6_13_wgs_156_tpt_78_half_ip_CI_unitstride_sbrr_dirReg
; %bb.0:
	s_clause 0x2
	s_load_b128 s[4:7], s[0:1], 0x0
	s_load_b64 s[8:9], s[0:1], 0x50
	s_load_b64 s[10:11], s[0:1], 0x18
	v_mul_u32_u24_e32 v1, 0x349, v0
	v_mov_b32_e32 v3, 0
	v_mov_b32_e32 v4, 0
	s_delay_alu instid0(VALU_DEP_3) | instskip(SKIP_1) | instid1(VALU_DEP_2)
	v_lshrrev_b32_e32 v9, 16, v1
	v_mov_b32_e32 v1, 0
	v_lshl_add_u32 v5, s15, 1, v9
	s_delay_alu instid0(VALU_DEP_2) | instskip(SKIP_2) | instid1(VALU_DEP_1)
	v_mov_b32_e32 v6, v1
	s_waitcnt lgkmcnt(0)
	v_cmp_lt_u64_e64 s2, s[6:7], 2
	s_and_b32 vcc_lo, exec_lo, s2
	s_cbranch_vccnz .LBB0_8
; %bb.1:
	s_load_b64 s[2:3], s[0:1], 0x10
	v_mov_b32_e32 v3, 0
	s_add_u32 s12, s10, 8
	v_mov_b32_e32 v4, 0
	s_addc_u32 s13, s11, 0
	s_mov_b64 s[16:17], 1
	s_waitcnt lgkmcnt(0)
	s_add_u32 s14, s2, 8
	s_addc_u32 s15, s3, 0
.LBB0_2:                                ; =>This Inner Loop Header: Depth=1
	s_load_b64 s[18:19], s[14:15], 0x0
                                        ; implicit-def: $vgpr7_vgpr8
	s_mov_b32 s2, exec_lo
	s_waitcnt lgkmcnt(0)
	v_or_b32_e32 v2, s19, v6
	s_delay_alu instid0(VALU_DEP_1)
	v_cmpx_ne_u64_e32 0, v[1:2]
	s_xor_b32 s3, exec_lo, s2
	s_cbranch_execz .LBB0_4
; %bb.3:                                ;   in Loop: Header=BB0_2 Depth=1
	v_cvt_f32_u32_e32 v2, s18
	v_cvt_f32_u32_e32 v7, s19
	s_sub_u32 s2, 0, s18
	s_subb_u32 s20, 0, s19
	s_delay_alu instid0(VALU_DEP_1) | instskip(NEXT) | instid1(VALU_DEP_1)
	v_fmac_f32_e32 v2, 0x4f800000, v7
	v_rcp_f32_e32 v2, v2
	s_waitcnt_depctr 0xfff
	v_mul_f32_e32 v2, 0x5f7ffffc, v2
	s_delay_alu instid0(VALU_DEP_1) | instskip(NEXT) | instid1(VALU_DEP_1)
	v_mul_f32_e32 v7, 0x2f800000, v2
	v_trunc_f32_e32 v7, v7
	s_delay_alu instid0(VALU_DEP_1) | instskip(SKIP_1) | instid1(VALU_DEP_2)
	v_fmac_f32_e32 v2, 0xcf800000, v7
	v_cvt_u32_f32_e32 v7, v7
	v_cvt_u32_f32_e32 v2, v2
	s_delay_alu instid0(VALU_DEP_2) | instskip(NEXT) | instid1(VALU_DEP_2)
	v_mul_lo_u32 v8, s2, v7
	v_mul_hi_u32 v10, s2, v2
	v_mul_lo_u32 v11, s20, v2
	s_delay_alu instid0(VALU_DEP_2) | instskip(SKIP_1) | instid1(VALU_DEP_2)
	v_add_nc_u32_e32 v8, v10, v8
	v_mul_lo_u32 v10, s2, v2
	v_add_nc_u32_e32 v8, v8, v11
	s_delay_alu instid0(VALU_DEP_2) | instskip(NEXT) | instid1(VALU_DEP_2)
	v_mul_hi_u32 v11, v2, v10
	v_mul_lo_u32 v12, v2, v8
	v_mul_hi_u32 v13, v2, v8
	v_mul_hi_u32 v14, v7, v10
	v_mul_lo_u32 v10, v7, v10
	v_mul_hi_u32 v15, v7, v8
	v_mul_lo_u32 v8, v7, v8
	v_add_co_u32 v11, vcc_lo, v11, v12
	v_add_co_ci_u32_e32 v12, vcc_lo, 0, v13, vcc_lo
	s_delay_alu instid0(VALU_DEP_2) | instskip(NEXT) | instid1(VALU_DEP_2)
	v_add_co_u32 v10, vcc_lo, v11, v10
	v_add_co_ci_u32_e32 v10, vcc_lo, v12, v14, vcc_lo
	v_add_co_ci_u32_e32 v11, vcc_lo, 0, v15, vcc_lo
	s_delay_alu instid0(VALU_DEP_2) | instskip(NEXT) | instid1(VALU_DEP_2)
	v_add_co_u32 v8, vcc_lo, v10, v8
	v_add_co_ci_u32_e32 v10, vcc_lo, 0, v11, vcc_lo
	s_delay_alu instid0(VALU_DEP_2) | instskip(NEXT) | instid1(VALU_DEP_2)
	v_add_co_u32 v2, vcc_lo, v2, v8
	v_add_co_ci_u32_e32 v7, vcc_lo, v7, v10, vcc_lo
	s_delay_alu instid0(VALU_DEP_2) | instskip(SKIP_1) | instid1(VALU_DEP_3)
	v_mul_hi_u32 v8, s2, v2
	v_mul_lo_u32 v11, s20, v2
	v_mul_lo_u32 v10, s2, v7
	s_delay_alu instid0(VALU_DEP_1) | instskip(SKIP_1) | instid1(VALU_DEP_2)
	v_add_nc_u32_e32 v8, v8, v10
	v_mul_lo_u32 v10, s2, v2
	v_add_nc_u32_e32 v8, v8, v11
	s_delay_alu instid0(VALU_DEP_2) | instskip(NEXT) | instid1(VALU_DEP_2)
	v_mul_hi_u32 v11, v2, v10
	v_mul_lo_u32 v12, v2, v8
	v_mul_hi_u32 v13, v2, v8
	v_mul_hi_u32 v14, v7, v10
	v_mul_lo_u32 v10, v7, v10
	v_mul_hi_u32 v15, v7, v8
	v_mul_lo_u32 v8, v7, v8
	v_add_co_u32 v11, vcc_lo, v11, v12
	v_add_co_ci_u32_e32 v12, vcc_lo, 0, v13, vcc_lo
	s_delay_alu instid0(VALU_DEP_2) | instskip(NEXT) | instid1(VALU_DEP_2)
	v_add_co_u32 v10, vcc_lo, v11, v10
	v_add_co_ci_u32_e32 v10, vcc_lo, v12, v14, vcc_lo
	v_add_co_ci_u32_e32 v11, vcc_lo, 0, v15, vcc_lo
	s_delay_alu instid0(VALU_DEP_2) | instskip(NEXT) | instid1(VALU_DEP_2)
	v_add_co_u32 v8, vcc_lo, v10, v8
	v_add_co_ci_u32_e32 v10, vcc_lo, 0, v11, vcc_lo
	s_delay_alu instid0(VALU_DEP_2) | instskip(NEXT) | instid1(VALU_DEP_2)
	v_add_co_u32 v2, vcc_lo, v2, v8
	v_add_co_ci_u32_e32 v14, vcc_lo, v7, v10, vcc_lo
	s_delay_alu instid0(VALU_DEP_2) | instskip(SKIP_1) | instid1(VALU_DEP_3)
	v_mul_hi_u32 v15, v5, v2
	v_mad_u64_u32 v[10:11], null, v6, v2, 0
	v_mad_u64_u32 v[7:8], null, v5, v14, 0
	;; [unrolled: 1-line block ×3, first 2 shown]
	s_delay_alu instid0(VALU_DEP_2) | instskip(NEXT) | instid1(VALU_DEP_3)
	v_add_co_u32 v2, vcc_lo, v15, v7
	v_add_co_ci_u32_e32 v7, vcc_lo, 0, v8, vcc_lo
	s_delay_alu instid0(VALU_DEP_2) | instskip(NEXT) | instid1(VALU_DEP_2)
	v_add_co_u32 v2, vcc_lo, v2, v10
	v_add_co_ci_u32_e32 v2, vcc_lo, v7, v11, vcc_lo
	v_add_co_ci_u32_e32 v7, vcc_lo, 0, v13, vcc_lo
	s_delay_alu instid0(VALU_DEP_2) | instskip(NEXT) | instid1(VALU_DEP_2)
	v_add_co_u32 v2, vcc_lo, v2, v12
	v_add_co_ci_u32_e32 v10, vcc_lo, 0, v7, vcc_lo
	s_delay_alu instid0(VALU_DEP_2) | instskip(SKIP_1) | instid1(VALU_DEP_3)
	v_mul_lo_u32 v11, s19, v2
	v_mad_u64_u32 v[7:8], null, s18, v2, 0
	v_mul_lo_u32 v12, s18, v10
	s_delay_alu instid0(VALU_DEP_2) | instskip(NEXT) | instid1(VALU_DEP_2)
	v_sub_co_u32 v7, vcc_lo, v5, v7
	v_add3_u32 v8, v8, v12, v11
	s_delay_alu instid0(VALU_DEP_1) | instskip(NEXT) | instid1(VALU_DEP_1)
	v_sub_nc_u32_e32 v11, v6, v8
	v_subrev_co_ci_u32_e64 v11, s2, s19, v11, vcc_lo
	v_add_co_u32 v12, s2, v2, 2
	s_delay_alu instid0(VALU_DEP_1) | instskip(SKIP_3) | instid1(VALU_DEP_3)
	v_add_co_ci_u32_e64 v13, s2, 0, v10, s2
	v_sub_co_u32 v14, s2, v7, s18
	v_sub_co_ci_u32_e32 v8, vcc_lo, v6, v8, vcc_lo
	v_subrev_co_ci_u32_e64 v11, s2, 0, v11, s2
	v_cmp_le_u32_e32 vcc_lo, s18, v14
	s_delay_alu instid0(VALU_DEP_3) | instskip(SKIP_1) | instid1(VALU_DEP_4)
	v_cmp_eq_u32_e64 s2, s19, v8
	v_cndmask_b32_e64 v14, 0, -1, vcc_lo
	v_cmp_le_u32_e32 vcc_lo, s19, v11
	v_cndmask_b32_e64 v15, 0, -1, vcc_lo
	v_cmp_le_u32_e32 vcc_lo, s18, v7
	;; [unrolled: 2-line block ×3, first 2 shown]
	v_cndmask_b32_e64 v16, 0, -1, vcc_lo
	v_cmp_eq_u32_e32 vcc_lo, s19, v11
	s_delay_alu instid0(VALU_DEP_2) | instskip(SKIP_3) | instid1(VALU_DEP_3)
	v_cndmask_b32_e64 v7, v16, v7, s2
	v_cndmask_b32_e32 v11, v15, v14, vcc_lo
	v_add_co_u32 v14, vcc_lo, v2, 1
	v_add_co_ci_u32_e32 v15, vcc_lo, 0, v10, vcc_lo
	v_cmp_ne_u32_e32 vcc_lo, 0, v11
	s_delay_alu instid0(VALU_DEP_2) | instskip(SKIP_1) | instid1(VALU_DEP_2)
	v_dual_cndmask_b32 v8, v15, v13 :: v_dual_cndmask_b32 v11, v14, v12
	v_cmp_ne_u32_e32 vcc_lo, 0, v7
	v_cndmask_b32_e32 v7, v2, v11, vcc_lo
	s_delay_alu instid0(VALU_DEP_3)
	v_cndmask_b32_e32 v8, v10, v8, vcc_lo
.LBB0_4:                                ;   in Loop: Header=BB0_2 Depth=1
	s_and_not1_saveexec_b32 s2, s3
	s_cbranch_execz .LBB0_6
; %bb.5:                                ;   in Loop: Header=BB0_2 Depth=1
	v_cvt_f32_u32_e32 v2, s18
	s_sub_i32 s3, 0, s18
	s_delay_alu instid0(VALU_DEP_1) | instskip(SKIP_2) | instid1(VALU_DEP_1)
	v_rcp_iflag_f32_e32 v2, v2
	s_waitcnt_depctr 0xfff
	v_mul_f32_e32 v2, 0x4f7ffffe, v2
	v_cvt_u32_f32_e32 v2, v2
	s_delay_alu instid0(VALU_DEP_1) | instskip(NEXT) | instid1(VALU_DEP_1)
	v_mul_lo_u32 v7, s3, v2
	v_mul_hi_u32 v7, v2, v7
	s_delay_alu instid0(VALU_DEP_1) | instskip(NEXT) | instid1(VALU_DEP_1)
	v_add_nc_u32_e32 v2, v2, v7
	v_mul_hi_u32 v2, v5, v2
	s_delay_alu instid0(VALU_DEP_1) | instskip(SKIP_1) | instid1(VALU_DEP_2)
	v_mul_lo_u32 v7, v2, s18
	v_add_nc_u32_e32 v8, 1, v2
	v_sub_nc_u32_e32 v7, v5, v7
	s_delay_alu instid0(VALU_DEP_1) | instskip(SKIP_1) | instid1(VALU_DEP_2)
	v_subrev_nc_u32_e32 v10, s18, v7
	v_cmp_le_u32_e32 vcc_lo, s18, v7
	v_dual_cndmask_b32 v7, v7, v10 :: v_dual_cndmask_b32 v2, v2, v8
	s_delay_alu instid0(VALU_DEP_1) | instskip(NEXT) | instid1(VALU_DEP_2)
	v_cmp_le_u32_e32 vcc_lo, s18, v7
	v_add_nc_u32_e32 v8, 1, v2
	s_delay_alu instid0(VALU_DEP_1)
	v_dual_cndmask_b32 v7, v2, v8 :: v_dual_mov_b32 v8, v1
.LBB0_6:                                ;   in Loop: Header=BB0_2 Depth=1
	s_or_b32 exec_lo, exec_lo, s2
	s_load_b64 s[2:3], s[12:13], 0x0
	s_delay_alu instid0(VALU_DEP_1) | instskip(NEXT) | instid1(VALU_DEP_2)
	v_mul_lo_u32 v2, v8, s18
	v_mul_lo_u32 v12, v7, s19
	v_mad_u64_u32 v[10:11], null, v7, s18, 0
	s_add_u32 s16, s16, 1
	s_addc_u32 s17, s17, 0
	s_add_u32 s12, s12, 8
	s_addc_u32 s13, s13, 0
	;; [unrolled: 2-line block ×3, first 2 shown]
	s_delay_alu instid0(VALU_DEP_1) | instskip(SKIP_1) | instid1(VALU_DEP_2)
	v_add3_u32 v2, v11, v12, v2
	v_sub_co_u32 v10, vcc_lo, v5, v10
	v_sub_co_ci_u32_e32 v2, vcc_lo, v6, v2, vcc_lo
	s_waitcnt lgkmcnt(0)
	s_delay_alu instid0(VALU_DEP_2) | instskip(NEXT) | instid1(VALU_DEP_2)
	v_mul_lo_u32 v11, s3, v10
	v_mul_lo_u32 v2, s2, v2
	v_mad_u64_u32 v[5:6], null, s2, v10, v[3:4]
	v_cmp_ge_u64_e64 s2, s[16:17], s[6:7]
	s_delay_alu instid0(VALU_DEP_1) | instskip(NEXT) | instid1(VALU_DEP_2)
	s_and_b32 vcc_lo, exec_lo, s2
	v_add3_u32 v4, v11, v6, v2
	s_delay_alu instid0(VALU_DEP_3)
	v_mov_b32_e32 v3, v5
	s_cbranch_vccnz .LBB0_9
; %bb.7:                                ;   in Loop: Header=BB0_2 Depth=1
	v_dual_mov_b32 v5, v7 :: v_dual_mov_b32 v6, v8
	s_branch .LBB0_2
.LBB0_8:
	v_dual_mov_b32 v8, v6 :: v_dual_mov_b32 v7, v5
.LBB0_9:
	s_lshl_b64 s[2:3], s[6:7], 3
	v_mul_hi_u32 v1, 0x3483484, v0
	s_add_u32 s2, s10, s2
	s_addc_u32 s3, s11, s3
                                        ; implicit-def: $vgpr14
                                        ; implicit-def: $vgpr13
                                        ; implicit-def: $vgpr15
                                        ; implicit-def: $vgpr12
                                        ; implicit-def: $vgpr16
                                        ; implicit-def: $vgpr11
                                        ; implicit-def: $vgpr17
                                        ; implicit-def: $vgpr18
                                        ; implicit-def: $vgpr19
	s_load_b64 s[2:3], s[2:3], 0x0
	s_load_b64 s[0:1], s[0:1], 0x20
	s_delay_alu instid0(VALU_DEP_1)
	v_mul_u32_u24_e32 v1, 0x4e, v1
	s_waitcnt lgkmcnt(0)
	v_mul_lo_u32 v2, s2, v8
	v_mul_lo_u32 v10, s3, v7
	v_mad_u64_u32 v[5:6], null, s2, v7, v[3:4]
	v_cmp_gt_u64_e32 vcc_lo, s[0:1], v[7:8]
	v_sub_nc_u32_e32 v4, v0, v1
                                        ; implicit-def: $vgpr8
                                        ; implicit-def: $vgpr7
	s_delay_alu instid0(VALU_DEP_3) | instskip(SKIP_2) | instid1(VALU_DEP_3)
	v_add3_u32 v6, v10, v6, v2
	v_mov_b32_e32 v2, 0
	v_mov_b32_e32 v3, 0
                                        ; implicit-def: $vgpr10
	v_lshlrev_b64 v[0:1], 2, v[5:6]
	v_mov_b32_e32 v6, 0
	s_and_saveexec_b32 s1, vcc_lo
; %bb.10:
	v_mov_b32_e32 v5, 0
	s_delay_alu instid0(VALU_DEP_3) | instskip(NEXT) | instid1(VALU_DEP_1)
	v_add_co_u32 v6, s0, s8, v0
	v_add_co_ci_u32_e64 v7, s0, s9, v1, s0
	s_delay_alu instid0(VALU_DEP_3) | instskip(NEXT) | instid1(VALU_DEP_1)
	v_lshlrev_b64 v[2:3], 2, v[4:5]
	v_add_co_u32 v2, s0, v6, v2
	s_delay_alu instid0(VALU_DEP_1)
	v_add_co_ci_u32_e64 v3, s0, v7, v3, s0
	s_clause 0xc
	global_load_b32 v6, v[2:3], off
	global_load_b32 v19, v[2:3], off offset:312
	global_load_b32 v18, v[2:3], off offset:624
	;; [unrolled: 1-line block ×12, first 2 shown]
	v_dual_mov_b32 v2, v4 :: v_dual_mov_b32 v3, v5
; %bb.11:
	s_or_b32 exec_lo, exec_lo, s1
	s_waitcnt vmcnt(0)
	v_pk_add_f16 v5, v19, v7 neg_lo:[0,1] neg_hi:[0,1]
	v_pk_add_f16 v20, v19, v7
	v_pk_add_f16 v19, v19, v6
	v_pk_add_f16 v40, v18, v8 neg_lo:[0,1] neg_hi:[0,1]
	v_pk_add_f16 v41, v18, v8
	v_pk_add_f16 v53, v17, v10
	;; [unrolled: 3-line block ×3, first 2 shown]
	v_pk_add_f16 v66, v16, v11 neg_lo:[0,1] neg_hi:[0,1]
	v_pk_add_f16 v78, v15, v12
	v_pk_add_f16 v79, v15, v12 neg_lo:[0,1] neg_hi:[0,1]
	v_pk_add_f16 v17, v17, v18
	v_pk_add_f16 v86, v14, v13
	v_lshrrev_b32_e32 v23, 16, v20
	v_mul_f16_e32 v24, 0xb770, v5
	v_mul_f16_e32 v25, 0xba95, v5
	v_pk_add_f16 v16, v16, v17
	v_mul_f16_e32 v32, 0xbbf1, v5
	v_mul_f16_e32 v35, 0xbb7b, v5
	;; [unrolled: 1-line block ×3, first 2 shown]
	v_and_b32_e32 v9, 1, v9
	v_pk_add_f16 v15, v15, v16
	v_lshrrev_b32_e32 v22, 16, v5
	v_fma_f16 v27, v23, 0x3b15, -v24
	v_fmac_f16_e32 v24, 0x3b15, v23
	v_fma_f16 v31, v23, 0x388b, -v25
	v_pk_add_f16 v15, v14, v15
	v_pk_add_f16 v14, v14, v13 neg_lo:[0,1] neg_hi:[0,1]
	v_fmac_f16_e32 v25, 0x388b, v23
	v_fma_f16 v36, v23, 0x2fb7, -v32
	v_fmac_f16_e32 v32, 0x2fb7, v23
	v_pk_add_f16 v13, v13, v15
	v_fma_f16 v38, v23, 0xb5ac, -v35
	v_fmac_f16_e32 v35, 0xb5ac, v23
	v_fma_f16 v43, v23, 0xb9fd, -v39
	v_lshrrev_b32_e32 v45, 16, v41
	v_pk_add_f16 v12, v12, v13
	v_mul_f16_e32 v46, 0xba95, v40
	v_fmac_f16_e32 v39, 0xb9fd, v23
	v_mul_f16_e32 v23, 0xbb7b, v40
	v_mul_f16_e32 v48, 0xb3a8, v40
	v_pk_add_f16 v11, v11, v12
	v_mul_f16_e32 v52, 0x394e, v40
	v_mul_f16_e32 v55, 0x3bf1, v40
	v_cmp_eq_u32_e64 s0, 1, v9
	v_mul_f16_e32 v9, 0xb770, v22
	v_pk_add_f16 v10, v10, v11
	v_lshrrev_b32_e32 v44, 16, v40
	v_fma_f16 v49, v45, 0x388b, -v46
	v_fmac_f16_e32 v46, 0x388b, v45
	v_fma_f16 v50, v45, 0xb5ac, -v23
	v_fmac_f16_e32 v23, 0xb5ac, v45
	;; [unrolled: 2-line block ×4, first 2 shown]
	v_lshrrev_b32_e32 v57, 16, v53
	v_mul_f16_e32 v58, 0xbbf1, v54
	v_fma_f16 v59, v45, 0x2fb7, -v55
	v_mul_f16_e32 v60, 0xb3a8, v54
	v_fmac_f16_e32 v55, 0x2fb7, v45
	v_mul_f16_e32 v45, 0x3b7b, v54
	v_mul_f16_e32 v64, 0x3770, v54
	;; [unrolled: 1-line block ×3, first 2 shown]
	v_lshrrev_b32_e32 v69, 16, v65
	v_mul_f16_e32 v70, 0xbb7b, v66
	v_mul_f16_e32 v72, 0x394e, v66
	;; [unrolled: 1-line block ×5, first 2 shown]
	v_lshrrev_b32_e32 v19, 16, v78
	v_mul_f16_e32 v81, 0xb94e, v79
	v_mul_f16_e32 v18, 0x3bf1, v79
	;; [unrolled: 1-line block ×5, first 2 shown]
	v_pk_add_f16 v8, v8, v10
	v_lshrrev_b32_e32 v10, 16, v6
	v_mul_f16_e32 v26, 0xba95, v22
	v_fmamk_f16 v28, v20, 0x3b15, v9
	v_fma_f16 v9, v20, 0x3b15, -v9
	v_mul_f16_e32 v30, 0xbbf1, v22
	v_mul_f16_e32 v34, 0xbb7b, v22
	v_mul_f16_e32 v22, 0xb94e, v22
	v_mul_f16_e32 v47, 0xba95, v44
	v_fma_f16 v61, v57, 0x2fb7, -v58
	v_fmac_f16_e32 v58, 0x2fb7, v57
	v_fma_f16 v62, v57, 0xbbc4, -v60
	v_fmac_f16_e32 v60, 0xbbc4, v57
	;; [unrolled: 2-line block ×14, first 2 shown]
	v_lshrrev_b32_e32 v88, 16, v86
	v_mul_f16_e32 v15, 0xb3a8, v14
	v_fma_f16 v89, v19, 0x3b15, -v87
	v_fmac_f16_e32 v87, 0x3b15, v19
	v_mul_f16_e32 v19, 0x3770, v14
	v_mul_f16_e32 v90, 0xb94e, v14
	;; [unrolled: 1-line block ×4, first 2 shown]
	v_add_f16_e32 v27, v27, v10
	v_pk_mul_f16 v5, 0xb3a8, v5 op_sel_hi:[0,1]
	v_fmamk_f16 v29, v20, 0x388b, v26
	v_fma_f16 v26, v20, 0x388b, -v26
	v_fmamk_f16 v33, v20, 0x2fb7, v30
	v_fma_f16 v30, v20, 0x2fb7, -v30
	v_fmamk_f16 v37, v20, 0xb5ac, v34
	v_fma_f16 v34, v20, 0xb5ac, -v34
	v_fmamk_f16 v42, v20, 0xb9fd, v22
	v_fma_f16 v22, v20, 0xb9fd, -v22
	v_fma_f16 v13, v88, 0xbbc4, -v15
	v_fmac_f16_e32 v15, 0xbbc4, v88
	v_fma_f16 v91, v88, 0x3b15, -v19
	v_fmac_f16_e32 v19, 0x3b15, v88
	;; [unrolled: 2-line block ×5, first 2 shown]
	v_fmamk_f16 v88, v41, 0x388b, v47
	v_fma_f16 v47, v41, 0x388b, -v47
	v_pk_add_f16 v7, v7, v8
	v_mul_f16_e32 v8, 0xbb7b, v44
	v_add_f16_e32 v24, v24, v10
	v_add_f16_e32 v31, v31, v10
	;; [unrolled: 1-line block ×9, first 2 shown]
	v_pk_fma_f16 v39, 0xbbc4, v20, v5 op_sel:[0,0,1] op_sel_hi:[0,1,0]
	v_pk_fma_f16 v5, 0xbbc4, v20, v5 op_sel:[0,0,1] op_sel_hi:[0,1,0] neg_lo:[0,0,1] neg_hi:[0,0,1]
	v_mul_f16_e32 v20, 0xb3a8, v44
	v_add_f16_e32 v28, v28, v6
	v_add_f16_e32 v9, v9, v6
	v_add_f16_e32 v27, v49, v27
	v_mul_f16_e32 v49, 0x394e, v44
	v_mul_f16_e32 v44, 0x3bf1, v44
	v_add_f16_e32 v29, v29, v6
	v_add_f16_e32 v26, v26, v6
	;; [unrolled: 1-line block ×8, first 2 shown]
	v_pk_add_f16 v39, v39, v6
	v_pk_add_f16 v5, v5, v6
	v_fmamk_f16 v6, v41, 0xb5ac, v8
	v_add_f16_e32 v28, v88, v28
	v_fmamk_f16 v88, v41, 0xbbc4, v20
	v_add_f16_e32 v9, v47, v9
	v_lshrrev_b32_e32 v47, 16, v54
	v_add_f16_e32 v24, v46, v24
	v_fmamk_f16 v46, v41, 0xb9fd, v49
	v_add_f16_e32 v31, v50, v31
	v_fmamk_f16 v50, v41, 0x2fb7, v44
	v_fma_f16 v44, v41, 0x2fb7, -v44
	v_pk_mul_f16 v40, 0x3770, v40 op_sel_hi:[0,1]
	v_fma_f16 v8, v41, 0xb5ac, -v8
	v_fma_f16 v20, v41, 0xbbc4, -v20
	v_add_f16_e32 v6, v6, v29
	v_mul_f16_e32 v29, 0xbbf1, v47
	v_add_f16_e32 v33, v88, v33
	v_mul_f16_e32 v88, 0x3b7b, v47
	;; [unrolled: 2-line block ×3, first 2 shown]
	v_add_f16_e32 v37, v46, v37
	v_lshrrev_b32_e32 v46, 16, v66
	v_add_f16_e32 v22, v44, v22
	v_pk_fma_f16 v44, 0x3b15, v41, v40 op_sel:[0,0,1] op_sel_hi:[0,1,0]
	v_fma_f16 v49, v41, 0xb9fd, -v49
	v_add_f16_e32 v8, v8, v26
	v_fmamk_f16 v26, v53, 0x2fb7, v29
	v_add_f16_e32 v23, v23, v25
	v_mul_f16_e32 v25, 0xb3a8, v47
	v_add_f16_e32 v20, v20, v30
	v_fmamk_f16 v30, v53, 0xb5ac, v88
	v_add_f16_e32 v38, v56, v38
	v_fmamk_f16 v56, v53, 0x3b15, v48
	v_mul_f16_e32 v47, 0xba95, v47
	v_pk_fma_f16 v40, 0x3b15, v41, v40 op_sel:[0,0,1] op_sel_hi:[0,1,0] neg_lo:[0,0,1] neg_hi:[0,0,1]
	v_mul_f16_e32 v41, 0x3770, v46
	v_pk_add_f16 v39, v44, v39
	v_mul_f16_e32 v44, 0xbbf1, v46
	v_add_f16_e32 v27, v61, v27
	v_lshrrev_b32_e32 v61, 16, v79
	v_fma_f16 v29, v53, 0x2fb7, -v29
	v_add_f16_e32 v36, v51, v36
	v_fmamk_f16 v51, v53, 0xbbc4, v25
	v_fma_f16 v88, v53, 0xb5ac, -v88
	v_fma_f16 v48, v53, 0x3b15, -v48
	v_add_f16_e32 v34, v49, v34
	v_mul_f16_e32 v49, 0xbb7b, v46
	v_add_f16_e32 v35, v52, v35
	v_fmamk_f16 v52, v53, 0x388b, v47
	v_fma_f16 v47, v53, 0x388b, -v47
	v_add_f16_e32 v42, v50, v42
	v_add_f16_e32 v43, v59, v43
	v_mul_f16_e32 v59, 0x394e, v46
	v_pk_add_f16 v5, v40, v5
	v_fmamk_f16 v40, v65, 0x3b15, v41
	v_add_f16_e32 v26, v26, v28
	v_fmamk_f16 v28, v65, 0x2fb7, v44
	v_mul_f16_e32 v46, 0x33a8, v46
	v_add_f16_e32 v23, v60, v23
	v_mul_f16_e32 v60, 0xba95, v61
	v_add_f16_e32 v30, v30, v33
	v_add_f16_e32 v37, v56, v37
	v_pk_mul_f16 v54, 0xb94e, v54 op_sel_hi:[0,1]
	v_add_f16_e32 v10, v55, v10
	v_fma_f16 v25, v53, 0xbbc4, -v25
	v_fmamk_f16 v50, v65, 0xb5ac, v49
	v_fma_f16 v49, v65, 0xb5ac, -v49
	v_fmamk_f16 v55, v65, 0xb9fd, v59
	v_fma_f16 v41, v65, 0x3b15, -v41
	v_fma_f16 v44, v65, 0x2fb7, -v44
	v_add_f16_e32 v9, v29, v9
	v_fmamk_f16 v29, v65, 0xbbc4, v46
	v_add_f16_e32 v24, v58, v24
	v_mul_f16_e32 v58, 0xb94e, v61
	v_add_f16_e32 v6, v51, v6
	v_mul_f16_e32 v51, 0x3bf1, v61
	;; [unrolled: 2-line block ×3, first 2 shown]
	v_add_f16_e32 v36, v63, v36
	v_fmamk_f16 v63, v78, 0x388b, v60
	v_add_f16_e32 v20, v88, v20
	v_mul_f16_e32 v61, 0x3770, v61
	v_add_f16_e32 v32, v45, v32
	v_lshrrev_b32_e32 v45, 16, v14
	v_add_f16_e32 v34, v48, v34
	v_add_f16_e32 v35, v64, v35
	;; [unrolled: 1-line block ×5, first 2 shown]
	v_pk_fma_f16 v47, 0xb9fd, v53, v54 op_sel:[0,0,1] op_sel_hi:[0,1,0]
	v_pk_fma_f16 v53, 0xb9fd, v53, v54 op_sel:[0,0,1] op_sel_hi:[0,1,0] neg_lo:[0,0,1] neg_hi:[0,0,1]
	v_add_f16_e32 v23, v72, v23
	v_add_f16_e32 v30, v40, v30
	;; [unrolled: 1-line block ×3, first 2 shown]
	v_pk_mul_f16 v37, 0x3a95, v66 op_sel_hi:[0,1]
	v_fma_f16 v46, v65, 0xbbc4, -v46
	v_add_f16_e32 v10, v67, v10
	v_add_f16_e32 v38, v68, v38
	v_fmamk_f16 v62, v78, 0xb9fd, v58
	v_fma_f16 v58, v78, 0xb9fd, -v58
	v_add_f16_e32 v8, v25, v8
	v_fmamk_f16 v25, v78, 0x2fb7, v51
	v_fma_f16 v60, v78, 0x388b, -v60
	v_fmamk_f16 v88, v78, 0xbbc4, v33
	v_fma_f16 v33, v78, 0xbbc4, -v33
	v_fmamk_f16 v56, v78, 0x3b15, v61
	v_mul_f16_e32 v68, 0xb3a8, v45
	v_mul_f16_e32 v48, 0x3770, v45
	;; [unrolled: 1-line block ×4, first 2 shown]
	v_pk_add_f16 v39, v47, v39
	v_mul_f16_e32 v45, 0xbb7b, v45
	v_pk_add_f16 v5, v53, v5
	v_add_f16_e32 v27, v57, v27
	v_add_f16_e32 v9, v49, v9
	;; [unrolled: 1-line block ×10, first 2 shown]
	v_pk_fma_f16 v40, 0x388b, v65, v37 op_sel:[0,0,1] op_sel_hi:[0,1,0]
	v_pk_fma_f16 v37, 0x388b, v65, v37 op_sel:[0,0,1] op_sel_hi:[0,1,0] neg_lo:[0,0,1] neg_hi:[0,0,1]
	v_add_f16_e32 v41, v82, v43
	v_add_f16_e32 v18, v18, v23
	;; [unrolled: 1-line block ×3, first 2 shown]
	v_pk_mul_f16 v30, 0xbb7b, v79 op_sel_hi:[0,1]
	v_fma_f16 v59, v65, 0xb9fd, -v59
	v_cndmask_b32_e64 v21, 0, 0x3f6, s0
	v_fma_f16 v61, v78, 0x3b15, -v61
	v_add_f16_e32 v26, v50, v26
	v_add_f16_e32 v22, v46, v22
	;; [unrolled: 1-line block ×5, first 2 shown]
	v_fmamk_f16 v64, v86, 0xbbc4, v68
	v_fma_f16 v68, v86, 0xbbc4, -v68
	v_fmamk_f16 v54, v86, 0xb9fd, v71
	v_fma_f16 v71, v86, 0xb9fd, -v71
	v_fmamk_f16 v47, v86, 0x388b, v67
	v_fmamk_f16 v50, v86, 0xb5ac, v45
	v_pk_add_f16 v39, v40, v39
	v_pk_add_f16 v5, v37, v5
	v_add_f16_e32 v27, v69, v27
	v_add_f16_e32 v9, v58, v9
	;; [unrolled: 1-line block ×11, first 2 shown]
	v_pk_fma_f16 v34, 0xb5ac, v78, v30 op_sel:[0,0,1] op_sel_hi:[0,1,0]
	v_pk_fma_f16 v30, 0xb5ac, v78, v30 op_sel:[0,0,1] op_sel_hi:[0,1,0] neg_lo:[0,0,1] neg_hi:[0,0,1]
	v_add_f16_e32 v35, v89, v41
	v_pk_mul_f16 v14, 0x3bf1, v14 op_sel_hi:[0,1]
	v_fma_f16 v51, v78, 0x2fb7, -v51
	v_add_f16_e32 v8, v59, v8
	v_fmamk_f16 v52, v86, 0x3b15, v48
	v_lshl_add_u32 v53, v21, 2, 0
	v_fma_f16 v45, v86, 0xb5ac, -v45
	v_add_f16_e32 v26, v62, v26
	v_add_f16_e32 v22, v61, v22
	v_add_f16_e32 v10, v87, v10
	v_add_f16_e32 v16, v16, v36
	v_add_f16_e32 v31, v85, v38
	v_pk_add_f16 v34, v34, v39
	v_pk_add_f16 v30, v30, v5
	v_add_f16_e32 v13, v13, v27
	v_add_f16_e32 v5, v68, v9
	;; [unrolled: 1-line block ×8, first 2 shown]
	v_pk_fma_f16 v27, 0x2fb7, v86, v14 op_sel:[0,0,1] op_sel_hi:[0,1,0]
	v_pk_fma_f16 v14, 0x2fb7, v86, v14 op_sel:[0,0,1] op_sel_hi:[0,1,0] neg_lo:[0,0,1] neg_hi:[0,0,1]
	v_add_f16_e32 v28, v94, v35
	v_fma_f16 v67, v86, 0x388b, -v67
	v_fma_f16 v48, v86, 0x3b15, -v48
	v_add_f16_e32 v8, v51, v8
	v_mad_u32_u24 v57, v4, 52, v53
	v_add_f16_e32 v26, v64, v26
	v_add_f16_e32 v6, v52, v6
	;; [unrolled: 1-line block ×7, first 2 shown]
	v_pk_add_f16 v27, v27, v34
	v_pk_add_f16 v14, v14, v30
	v_pack_b32_f16 v25, v25, v28
	v_add_f16_e32 v23, v67, v32
	v_add_f16_e32 v12, v12, v33
	;; [unrolled: 1-line block ×4, first 2 shown]
	v_pack_b32_f16 v6, v6, v9
	v_pack_b32_f16 v9, v26, v13
	;; [unrolled: 1-line block ×3, first 2 shown]
	v_mad_i32_i24 v22, 0xffffffd0, v4, v57
	v_pack_b32_f16 v11, v20, v11
	v_pack_b32_f16 v13, v18, v16
	ds_store_2addr_b32 v57, v7, v25 offset1:5
	v_bfi_b32 v7, 0xffff, v14, v27
	v_bfi_b32 v14, 0xffff, v27, v14
	v_pack_b32_f16 v12, v23, v12
	v_pack_b32_f16 v8, v8, v15
	v_pack_b32_f16 v15, v19, v17
	v_pack_b32_f16 v16, v5, v24
	ds_store_2addr_b32 v57, v9, v6 offset0:1 offset1:2
	ds_store_2addr_b32 v57, v13, v11 offset0:3 offset1:4
	;; [unrolled: 1-line block ×5, first 2 shown]
	ds_store_b32 v57, v16 offset:48
	v_add_nc_u32_e32 v6, 0x200, v22
	v_add_nc_u32_e32 v7, 0x400, v22
	;; [unrolled: 1-line block ×4, first 2 shown]
	s_waitcnt lgkmcnt(0)
	s_barrier
	buffer_gl0_inv
	v_lshl_add_u32 v23, v4, 2, v53
	ds_load_2addr_b32 v[11:12], v22 offset0:78 offset1:169
	ds_load_2addr_b32 v[19:20], v6 offset0:119 offset1:210
	;; [unrolled: 1-line block ×5, first 2 shown]
	ds_load_b32 v30, v23
	ds_load_b32 v31, v22 offset:3692
	v_cmp_gt_u32_e64 s0, 13, v4
                                        ; implicit-def: $vgpr25
                                        ; implicit-def: $vgpr8
                                        ; implicit-def: $vgpr28
                                        ; implicit-def: $vgpr26
                                        ; implicit-def: $vgpr10
                                        ; implicit-def: $vgpr29
                                        ; implicit-def: $vgpr27
	s_delay_alu instid0(VALU_DEP_1)
	s_and_saveexec_b32 s1, s0
	s_cbranch_execz .LBB0_13
; %bb.12:
	v_add_nc_u32_e32 v7, 0x700, v22
	v_add_nc_u32_e32 v8, 0xc00, v22
	ds_load_2addr_b32 v[5:6], v6 offset0:28 offset1:197
	ds_load_2addr_b32 v[9:10], v7 offset0:46 offset1:215
	;; [unrolled: 1-line block ×3, first 2 shown]
	s_waitcnt lgkmcnt(2)
	v_lshrrev_b32_e32 v24, 16, v5
	v_lshrrev_b32_e32 v27, 16, v6
	s_waitcnt lgkmcnt(1)
	v_lshrrev_b32_e32 v29, 16, v9
	v_lshrrev_b32_e32 v26, 16, v10
	;; [unrolled: 3-line block ×3, first 2 shown]
.LBB0_13:
	s_or_b32 exec_lo, exec_lo, s1
	v_and_b32_e32 v32, 0xff, v4
	v_add_nc_u16 v33, v4, 0x4e
	v_lshlrev_b32_e32 v21, 2, v21
	s_waitcnt lgkmcnt(6)
	v_lshrrev_b32_e32 v50, 16, v12
	s_waitcnt lgkmcnt(5)
	v_lshrrev_b32_e32 v51, 16, v20
	v_mul_lo_u16 v32, 0x4f, v32
	s_waitcnt lgkmcnt(4)
	v_lshrrev_b32_e32 v52, 16, v18
	s_waitcnt lgkmcnt(3)
	v_lshrrev_b32_e32 v53, 16, v16
	;; [unrolled: 2-line block ×3, first 2 shown]
	v_lshrrev_b32_e32 v48, 16, v13
	v_lshrrev_b16 v40, 10, v32
	v_and_b32_e32 v32, 0xff, v33
	s_waitcnt lgkmcnt(0)
	v_lshrrev_b32_e32 v49, 16, v31
	v_lshrrev_b32_e32 v55, 16, v19
	;; [unrolled: 1-line block ×3, first 2 shown]
	v_mul_lo_u16 v34, v40, 13
	v_mul_lo_u16 v32, 0x4f, v32
	v_and_b32_e32 v40, 0xffff, v40
	v_lshrrev_b32_e32 v57, 16, v15
	v_lshrrev_b32_e32 v46, 16, v30
	v_sub_nc_u16 v34, v4, v34
	v_lshrrev_b16 v41, 10, v32
	v_mad_u32_u24 v40, 0x138, v40, 0
	v_lshrrev_b32_e32 v47, 16, v11
	s_delay_alu instid0(VALU_DEP_4) | instskip(NEXT) | instid1(VALU_DEP_4)
	v_and_b32_e32 v42, 0xff, v34
	v_mul_lo_u16 v32, v41, 13
	v_and_b32_e32 v41, 0xffff, v41
	s_delay_alu instid0(VALU_DEP_3) | instskip(NEXT) | instid1(VALU_DEP_3)
	v_mul_u32_u24_e32 v34, 5, v42
	v_sub_nc_u16 v32, v33, v32
	s_delay_alu instid0(VALU_DEP_3) | instskip(SKIP_1) | instid1(VALU_DEP_4)
	v_mad_u32_u24 v41, 0x138, v41, 0
	v_lshlrev_b32_e32 v42, 2, v42
	v_lshlrev_b32_e32 v36, 2, v34
	s_delay_alu instid0(VALU_DEP_4)
	v_and_b32_e32 v43, 0xff, v32
	s_clause 0x1
	global_load_b128 v[32:35], v36, s[4:5]
	global_load_b32 v44, v36, s[4:5] offset:16
	v_mul_u32_u24_e32 v36, 5, v43
	v_lshlrev_b32_e32 v43, 2, v43
	v_add3_u32 v40, v40, v42, v21
	s_delay_alu instid0(VALU_DEP_3) | instskip(NEXT) | instid1(VALU_DEP_3)
	v_lshlrev_b32_e32 v45, 2, v36
	v_add3_u32 v41, v41, v43, v21
	s_clause 0x1
	global_load_b128 v[36:39], v45, s[4:5]
	global_load_b32 v45, v45, s[4:5] offset:16
	s_waitcnt vmcnt(0)
	s_barrier
	buffer_gl0_inv
	v_lshrrev_b32_e32 v42, 16, v32
	v_lshrrev_b32_e32 v43, 16, v33
	;; [unrolled: 1-line block ×5, first 2 shown]
	v_mul_f16_e32 v61, v42, v50
	v_mul_f16_e32 v42, v42, v12
	v_mul_f16_e32 v62, v43, v51
	v_mul_f16_e32 v43, v43, v20
	v_mul_f16_e32 v63, v58, v52
	v_mul_f16_e32 v58, v58, v18
	v_mul_f16_e32 v64, v59, v53
	v_mul_f16_e32 v59, v59, v16
	v_mul_f16_e32 v65, v60, v54
	v_mul_f16_e32 v60, v60, v14
	v_lshrrev_b32_e32 v66, 16, v36
	v_lshrrev_b32_e32 v67, 16, v37
	;; [unrolled: 1-line block ×5, first 2 shown]
	v_fmac_f16_e32 v61, v32, v12
	v_fma_f16 v12, v32, v50, -v42
	v_fmac_f16_e32 v62, v33, v20
	v_fma_f16 v20, v33, v51, -v43
	v_fmac_f16_e32 v63, v34, v18
	v_fma_f16 v18, v34, v52, -v58
	v_fmac_f16_e32 v64, v35, v16
	v_fma_f16 v16, v35, v53, -v59
	v_fmac_f16_e32 v65, v44, v14
	v_fma_f16 v14, v44, v54, -v60
	v_mul_f16_e32 v32, v66, v55
	v_mul_f16_e32 v33, v66, v19
	;; [unrolled: 1-line block ×10, first 2 shown]
	v_fmac_f16_e32 v32, v36, v19
	v_fma_f16 v19, v36, v55, -v33
	v_fmac_f16_e32 v34, v37, v17
	v_fma_f16 v17, v37, v56, -v35
	v_fmac_f16_e32 v42, v38, v15
	v_fma_f16 v15, v38, v57, -v43
	v_fmac_f16_e32 v44, v13, v39
	v_fma_f16 v13, v48, v39, -v50
	v_fmac_f16_e32 v51, v31, v45
	v_fma_f16 v31, v49, v45, -v52
	v_add_f16_e32 v35, v62, v64
	v_sub_f16_e32 v36, v20, v16
	v_add_f16_e32 v37, v46, v20
	v_add_f16_e32 v20, v20, v16
	;; [unrolled: 1-line block ×3, first 2 shown]
	v_sub_f16_e32 v45, v18, v14
	v_add_f16_e32 v48, v12, v18
	v_add_f16_e32 v18, v18, v14
	;; [unrolled: 1-line block ×3, first 2 shown]
	v_sub_f16_e32 v38, v62, v64
	v_add_f16_e32 v39, v61, v63
	v_sub_f16_e32 v49, v63, v65
	v_fmac_f16_e32 v30, -0.5, v35
	v_fmac_f16_e32 v46, -0.5, v20
	;; [unrolled: 1-line block ×4, first 2 shown]
	v_sub_f16_e32 v50, v15, v31
	v_add_f16_e32 v52, v19, v15
	v_add_f16_e32 v15, v15, v31
	;; [unrolled: 1-line block ×8, first 2 shown]
	v_sub_f16_e32 v37, v17, v13
	v_add_f16_e32 v39, v47, v17
	v_add_f16_e32 v17, v17, v13
	;; [unrolled: 1-line block ×4, first 2 shown]
	v_sub_f16_e32 v42, v42, v51
	v_fmamk_f16 v53, v36, 0xbaee, v30
	v_fmac_f16_e32 v30, 0x3aee, v36
	v_fmamk_f16 v36, v38, 0x3aee, v46
	v_fmac_f16_e32 v46, 0xbaee, v38
	;; [unrolled: 2-line block ×3, first 2 shown]
	v_fmamk_f16 v45, v49, 0x3aee, v12
	v_fmac_f16_e32 v19, -0.5, v15
	v_fmac_f16_e32 v12, 0xbaee, v49
	v_sub_f16_e32 v34, v34, v44
	v_add_f16_e32 v49, v33, v20
	v_add_f16_e32 v54, v16, v14
	v_sub_f16_e32 v20, v33, v20
	v_sub_f16_e32 v14, v16, v14
	v_add_f16_e32 v16, v18, v44
	v_fmac_f16_e32 v11, -0.5, v35
	v_add_f16_e32 v13, v39, v13
	v_fmac_f16_e32 v47, -0.5, v17
	;; [unrolled: 2-line block ×3, first 2 shown]
	v_add_f16_e32 v18, v52, v31
	v_mul_f16_e32 v15, 0xbaee, v45
	v_mul_f16_e32 v33, 0.5, v45
	v_fmamk_f16 v39, v42, 0x3aee, v19
	v_fmac_f16_e32 v19, 0xbaee, v42
	v_mul_f16_e32 v31, 0xbaee, v12
	v_mul_f16_e32 v12, -0.5, v12
	v_fmamk_f16 v35, v37, 0xbaee, v11
	v_fmac_f16_e32 v11, 0x3aee, v37
	v_fmamk_f16 v37, v34, 0x3aee, v47
	v_fmac_f16_e32 v47, 0xbaee, v34
	v_fmamk_f16 v34, v50, 0xbaee, v32
	v_add_f16_e32 v42, v16, v17
	v_add_f16_e32 v43, v13, v18
	v_sub_f16_e32 v16, v16, v17
	v_sub_f16_e32 v13, v13, v18
	v_fmac_f16_e32 v15, 0.5, v38
	v_fmac_f16_e32 v33, 0x3aee, v38
	v_mul_f16_e32 v18, 0xbaee, v39
	v_mul_f16_e32 v38, 0.5, v39
	v_fmac_f16_e32 v32, 0x3aee, v50
	v_pack_b32_f16 v14, v20, v14
	v_mul_f16_e32 v20, 0xbaee, v19
	v_mul_f16_e32 v19, -0.5, v19
	v_fmac_f16_e32 v31, -0.5, v61
	v_fmac_f16_e32 v12, 0x3aee, v61
	v_pack_b32_f16 v39, v42, v43
	v_pack_b32_f16 v13, v16, v13
	v_add_f16_e32 v16, v53, v15
	v_add_f16_e32 v43, v36, v33
	v_fmac_f16_e32 v18, 0.5, v34
	v_fmac_f16_e32 v38, 0x3aee, v34
	v_fmac_f16_e32 v20, -0.5, v32
	v_fmac_f16_e32 v19, 0x3aee, v32
	v_add_f16_e32 v42, v30, v31
	v_add_f16_e32 v44, v46, v12
	v_sub_f16_e32 v15, v53, v15
	v_sub_f16_e32 v30, v30, v31
	;; [unrolled: 1-line block ×4, first 2 shown]
	v_pack_b32_f16 v17, v49, v54
	v_add_f16_e32 v32, v35, v18
	v_add_f16_e32 v34, v37, v38
	v_pack_b32_f16 v16, v16, v43
	v_add_f16_e32 v33, v11, v20
	v_add_f16_e32 v36, v47, v19
	v_sub_f16_e32 v18, v35, v18
	v_sub_f16_e32 v11, v11, v20
	;; [unrolled: 1-line block ×4, first 2 shown]
	v_pack_b32_f16 v35, v42, v44
	v_pack_b32_f16 v15, v15, v31
	v_pack_b32_f16 v12, v30, v12
	ds_store_2addr_b32 v40, v17, v16 offset1:13
	v_pack_b32_f16 v16, v32, v34
	v_pack_b32_f16 v17, v33, v36
	;; [unrolled: 1-line block ×4, first 2 shown]
	ds_store_2addr_b32 v40, v35, v14 offset0:26 offset1:39
	ds_store_2addr_b32 v40, v15, v12 offset0:52 offset1:65
	ds_store_2addr_b32 v41, v39, v16 offset1:13
	ds_store_2addr_b32 v41, v17, v13 offset0:26 offset1:39
	ds_store_2addr_b32 v41, v18, v11 offset0:52 offset1:65
	s_and_saveexec_b32 s1, s0
	s_cbranch_execz .LBB0_15
; %bb.14:
	v_add_nc_u16 v11, v4, 0x9c
	s_delay_alu instid0(VALU_DEP_1) | instskip(NEXT) | instid1(VALU_DEP_1)
	v_and_b32_e32 v12, 0xff, v11
	v_mul_lo_u16 v12, 0x4f, v12
	s_delay_alu instid0(VALU_DEP_1) | instskip(NEXT) | instid1(VALU_DEP_1)
	v_lshrrev_b16 v12, 10, v12
	v_mul_lo_u16 v12, v12, 13
	s_delay_alu instid0(VALU_DEP_1) | instskip(NEXT) | instid1(VALU_DEP_1)
	v_sub_nc_u16 v11, v11, v12
	v_and_b32_e32 v15, 0xff, v11
	s_delay_alu instid0(VALU_DEP_1) | instskip(SKIP_1) | instid1(VALU_DEP_2)
	v_mul_u32_u24_e32 v11, 5, v15
	v_lshlrev_b32_e32 v15, 2, v15
	v_lshlrev_b32_e32 v16, 2, v11
	s_delay_alu instid0(VALU_DEP_2)
	v_add3_u32 v15, 0, v15, v21
	s_clause 0x1
	global_load_b128 v[11:14], v16, s[4:5]
	global_load_b32 v16, v16, s[4:5] offset:16
	v_add_nc_u32_e32 v15, 0xc00, v15
	s_waitcnt vmcnt(1)
	v_lshrrev_b32_e32 v18, 16, v14
	v_lshrrev_b32_e32 v19, 16, v11
	;; [unrolled: 1-line block ×3, first 2 shown]
	s_waitcnt vmcnt(0)
	v_lshrrev_b32_e32 v21, 16, v16
	v_lshrrev_b32_e32 v17, 16, v12
	v_mul_f16_e32 v31, v7, v18
	v_mul_f16_e32 v18, v28, v18
	;; [unrolled: 1-line block ×10, first 2 shown]
	v_fmac_f16_e32 v18, v7, v14
	v_fmac_f16_e32 v32, v6, v11
	v_fma_f16 v6, v26, v13, -v20
	v_fma_f16 v7, v25, v16, -v21
	;; [unrolled: 1-line block ×4, first 2 shown]
	v_fmac_f16_e32 v17, v9, v12
	v_fmac_f16_e32 v33, v10, v13
	;; [unrolled: 1-line block ×3, first 2 shown]
	v_fma_f16 v8, v27, v11, -v19
	v_add_f16_e32 v13, v6, v7
	v_add_f16_e32 v9, v29, v28
	v_sub_f16_e32 v12, v6, v7
	v_add_f16_e32 v11, v33, v34
	v_sub_f16_e32 v14, v33, v34
	v_add_f16_e32 v16, v24, v29
	v_add_f16_e32 v6, v8, v6
	;; [unrolled: 1-line block ×3, first 2 shown]
	v_fma_f16 v8, -0.5, v13, v8
	v_sub_f16_e32 v10, v17, v18
	v_add_f16_e32 v17, v5, v17
	v_add_f16_e32 v21, v32, v33
	v_sub_f16_e32 v20, v29, v28
	v_fma_f16 v9, -0.5, v9, v24
	v_fma_f16 v11, -0.5, v11, v32
	v_add_f16_e32 v13, v16, v28
	v_add_f16_e32 v6, v6, v7
	v_fma_f16 v5, -0.5, v19, v5
	v_fmamk_f16 v19, v14, 0xbaee, v8
	v_fmac_f16_e32 v8, 0x3aee, v14
	v_add_f16_e32 v7, v17, v18
	v_add_f16_e32 v16, v21, v34
	v_fmamk_f16 v17, v10, 0xbaee, v9
	v_fmamk_f16 v18, v12, 0x3aee, v11
	v_fmac_f16_e32 v9, 0x3aee, v10
	v_fmac_f16_e32 v11, 0xbaee, v12
	v_sub_f16_e32 v10, v13, v6
	v_fmamk_f16 v12, v20, 0x3aee, v5
	v_fmac_f16_e32 v5, 0xbaee, v20
	v_add_f16_e32 v6, v13, v6
	v_mul_f16_e32 v13, -0.5, v19
	v_mul_f16_e32 v20, 0.5, v8
	v_mul_f16_e32 v8, 0xbaee, v8
	v_sub_f16_e32 v14, v7, v16
	v_add_f16_e32 v7, v7, v16
	v_mul_f16_e32 v16, 0xbaee, v19
	v_fmac_f16_e32 v13, 0x3aee, v18
	v_fmac_f16_e32 v20, 0x3aee, v11
	v_fmac_f16_e32 v8, 0.5, v11
	v_pack_b32_f16 v6, v7, v6
	v_fmac_f16_e32 v16, -0.5, v18
	v_sub_f16_e32 v7, v17, v13
	v_sub_f16_e32 v11, v9, v20
	v_add_f16_e32 v13, v17, v13
	v_add_f16_e32 v9, v9, v20
	;; [unrolled: 1-line block ×4, first 2 shown]
	v_sub_f16_e32 v5, v5, v8
	v_sub_f16_e32 v8, v12, v16
	v_pack_b32_f16 v10, v14, v10
	v_pack_b32_f16 v9, v17, v9
	;; [unrolled: 1-line block ×5, first 2 shown]
	ds_store_2addr_b32 v15, v6, v9 offset0:168 offset1:181
	ds_store_2addr_b32 v15, v12, v10 offset0:194 offset1:207
	;; [unrolled: 1-line block ×3, first 2 shown]
.LBB0_15:
	s_or_b32 exec_lo, exec_lo, s1
	s_waitcnt lgkmcnt(0)
	s_barrier
	buffer_gl0_inv
	s_and_saveexec_b32 s0, vcc_lo
	s_cbranch_execz .LBB0_17
; %bb.16:
	v_mul_u32_u24_e32 v4, 12, v4
	v_add_nc_u32_e32 v5, 0xc00, v22
	v_add_nc_u32_e32 v6, 0xa00, v22
	;; [unrolled: 1-line block ×4, first 2 shown]
	v_lshlrev_b32_e32 v4, 2, v4
	v_lshlrev_b64 v[2:3], 2, v[2:3]
	v_add_co_u32 v0, vcc_lo, s8, v0
	v_add_co_ci_u32_e32 v1, vcc_lo, s9, v1, vcc_lo
	s_clause 0x2
	global_load_b128 v[30:33], v4, s[4:5] offset:292
	global_load_b128 v[12:15], v4, s[4:5] offset:260
	;; [unrolled: 1-line block ×3, first 2 shown]
	ds_load_2addr_b32 v[20:21], v22 offset0:78 offset1:156
	ds_load_b32 v4, v23
	ds_load_2addr_b32 v[23:24], v5 offset0:90 offset1:168
	v_add_nc_u32_e32 v5, 0x400, v22
	ds_load_2addr_b32 v[38:39], v6 offset0:62 offset1:140
	ds_load_2addr_b32 v[40:41], v7 offset0:106 offset1:184
	;; [unrolled: 1-line block ×4, first 2 shown]
	v_add_co_u32 v0, vcc_lo, v0, v2
	v_add_co_ci_u32_e32 v1, vcc_lo, v1, v3, vcc_lo
	s_waitcnt lgkmcnt(6)
	v_lshrrev_b32_e32 v18, 16, v20
	v_lshrrev_b32_e32 v25, 16, v21
	s_waitcnt lgkmcnt(4)
	v_lshrrev_b32_e32 v11, 16, v24
	s_waitcnt lgkmcnt(3)
	v_lshrrev_b32_e32 v48, 16, v38
	v_lshrrev_b32_e32 v27, 16, v23
	;; [unrolled: 1-line block ×3, first 2 shown]
	s_waitcnt lgkmcnt(2)
	v_lshrrev_b32_e32 v49, 16, v41
	s_waitcnt lgkmcnt(1)
	v_lshrrev_b32_e32 v52, 16, v42
	v_lshrrev_b32_e32 v5, 16, v4
	;; [unrolled: 1-line block ×4, first 2 shown]
	s_waitcnt lgkmcnt(0)
	v_lshrrev_b32_e32 v51, 16, v44
	v_lshrrev_b32_e32 v53, 16, v45
	s_waitcnt vmcnt(2)
	v_lshrrev_b32_e32 v26, 16, v33
	s_waitcnt vmcnt(1)
	v_lshrrev_b32_e32 v28, 16, v12
	v_lshrrev_b32_e32 v29, 16, v30
	;; [unrolled: 1-line block ×4, first 2 shown]
	v_mul_f16_e32 v6, v33, v24
	v_mul_f16_e32 v9, v30, v38
	s_waitcnt vmcnt(0)
	v_lshrrev_b32_e32 v60, 16, v36
	v_mul_f16_e32 v24, v26, v24
	v_mul_f16_e32 v62, v28, v20
	v_lshrrev_b32_e32 v22, 16, v31
	v_lshrrev_b32_e32 v57, 16, v15
	v_mul_f16_e32 v7, v32, v23
	v_mul_f16_e32 v8, v31, v39
	v_lshrrev_b32_e32 v61, 16, v37
	v_mul_f16_e32 v16, v36, v42
	v_mul_f16_e32 v28, v28, v18
	v_fmac_f16_e32 v6, v11, v26
	v_mul_f16_e32 v63, v54, v23
	v_mul_f16_e32 v64, v55, v21
	;; [unrolled: 1-line block ×3, first 2 shown]
	v_fmac_f16_e32 v9, v48, v29
	v_mul_f16_e32 v42, v60, v42
	v_fma_f16 v11, v33, v11, -v24
	v_fma_f16 v29, v12, v18, -v62
	v_lshrrev_b32_e32 v56, 16, v14
	v_mul_f16_e32 v10, v37, v43
	v_mul_f16_e32 v26, v55, v25
	v_fmac_f16_e32 v7, v27, v54
	v_mul_f16_e32 v39, v22, v39
	v_fmac_f16_e32 v8, v46, v22
	v_mul_f16_e32 v55, v57, v41
	v_mul_f16_e32 v22, v57, v49
	;; [unrolled: 1-line block ×3, first 2 shown]
	v_fmac_f16_e32 v28, v12, v20
	v_fma_f16 v12, v32, v27, -v63
	v_fma_f16 v27, v13, v25, -v64
	;; [unrolled: 1-line block ×3, first 2 shown]
	v_add_f16_e32 v42, v11, v29
	v_lshrrev_b32_e32 v58, 16, v34
	v_mul_f16_e32 v54, v56, v40
	v_mul_f16_e32 v23, v56, v47
	v_fmac_f16_e32 v26, v13, v21
	v_fma_f16 v13, v31, v46, -v39
	v_fma_f16 v24, v15, v49, -v55
	v_fmac_f16_e32 v22, v15, v41
	v_fma_f16 v15, v37, v50, -v43
	v_sub_f16_e32 v41, v28, v6
	v_add_f16_e32 v43, v12, v27
	v_add_f16_e32 v39, v6, v28
	v_sub_f16_e32 v46, v29, v11
	v_add_f16_e32 v28, v28, v4
	v_add_f16_e32 v29, v29, v5
	v_mul_f16_e32 v62, 0xb9fd, v42
	v_lshrrev_b32_e32 v59, 16, v35
	v_mul_f16_e32 v19, v34, v44
	v_mul_f16_e32 v44, v58, v44
	v_fma_f16 v25, v14, v47, -v54
	v_fmac_f16_e32 v23, v14, v40
	v_fma_f16 v14, v30, v48, -v38
	v_sub_f16_e32 v40, v26, v7
	v_add_f16_e32 v38, v7, v26
	v_sub_f16_e32 v47, v27, v12
	v_mul_f16_e32 v63, 0x2fb7, v43
	v_mul_f16_e32 v66, 0xb94e, v46
	;; [unrolled: 1-line block ×3, first 2 shown]
	v_add_f16_e32 v26, v28, v26
	v_add_f16_e32 v27, v29, v27
	v_fmamk_f16 v110, v41, 0x394e, v62
	v_mul_f16_e32 v17, v35, v45
	v_mul_f16_e32 v45, v59, v45
	v_fma_f16 v21, v34, v51, -v44
	v_add_f16_e32 v44, v13, v25
	v_sub_f16_e32 v37, v23, v8
	v_add_f16_e32 v36, v8, v23
	v_sub_f16_e32 v48, v25, v13
	v_mul_f16_e32 v67, 0x3bf1, v47
	v_mul_f16_e32 v70, 0xb9fd, v43
	;; [unrolled: 1-line block ×4, first 2 shown]
	v_fmamk_f16 v111, v40, 0xbbf1, v63
	v_fmamk_f16 v112, v39, 0xb9fd, v66
	;; [unrolled: 1-line block ×3, first 2 shown]
	v_add_f16_e32 v23, v26, v23
	v_add_f16_e32 v25, v27, v25
	;; [unrolled: 1-line block ×3, first 2 shown]
	v_fmac_f16_e32 v19, v51, v58
	v_fmac_f16_e32 v10, v50, v61
	v_fma_f16 v20, v35, v53, -v45
	v_add_f16_e32 v45, v14, v24
	v_sub_f16_e32 v35, v22, v9
	v_add_f16_e32 v34, v9, v22
	v_sub_f16_e32 v49, v24, v14
	v_mul_f16_e32 v64, 0x388b, v44
	v_mul_f16_e32 v72, 0x394e, v47
	;; [unrolled: 1-line block ×4, first 2 shown]
	v_fmamk_f16 v113, v38, 0x2fb7, v67
	v_fmamk_f16 v26, v40, 0xb94e, v70
	;; [unrolled: 1-line block ×3, first 2 shown]
	v_add_f16_e32 v22, v23, v22
	v_add_f16_e32 v24, v25, v24
	;; [unrolled: 1-line block ×5, first 2 shown]
	v_fmamk_f16 v111, v41, 0x3a95, v77
	v_fmac_f16_e32 v17, v53, v59
	v_fmac_f16_e32 v16, v52, v60
	v_sub_f16_e32 v32, v19, v10
	v_add_f16_e32 v33, v10, v19
	v_add_f16_e32 v50, v15, v21
	v_sub_f16_e32 v53, v21, v15
	v_mul_f16_e32 v58, 0xb3a8, v46
	v_mul_f16_e32 v75, 0xbbf1, v46
	;; [unrolled: 1-line block ×5, first 2 shown]
	v_fmamk_f16 v27, v38, 0xb9fd, v72
	v_add_f16_e32 v115, v115, v4
	v_add_f16_e32 v112, v112, v113
	v_fmamk_f16 v113, v40, 0x3b7b, v78
	v_add_f16_e32 v26, v114, v26
	v_fmamk_f16 v114, v39, 0x388b, v79
	v_add_f16_e32 v111, v111, v5
	v_add_f16_e32 v19, v22, v19
	;; [unrolled: 1-line block ×3, first 2 shown]
	v_fmamk_f16 v24, v37, 0x3a95, v64
	v_sub_f16_e32 v31, v17, v16
	v_add_f16_e32 v30, v16, v17
	v_add_f16_e32 v51, v18, v20
	v_sub_f16_e32 v52, v20, v18
	v_mul_f16_e32 v54, 0xbbc4, v42
	v_mul_f16_e32 v59, 0x3770, v47
	;; [unrolled: 1-line block ×5, first 2 shown]
	v_add_f16_e32 v27, v115, v27
	v_fmamk_f16 v115, v38, 0xb5ac, v80
	v_add_f16_e32 v114, v114, v4
	v_add_f16_e32 v111, v111, v113
	v_fmamk_f16 v113, v39, 0x3b15, v46
	v_add_f16_e32 v24, v110, v24
	v_fmamk_f16 v110, v36, 0x3b15, v81
	v_add_f16_e32 v17, v19, v17
	v_add_f16_e32 v20, v21, v20
	v_mul_f16_e32 v55, 0x3b15, v43
	v_mul_f16_e32 v60, 0xb94e, v48
	;; [unrolled: 1-line block ×7, first 2 shown]
	v_fmamk_f16 v106, v41, 0x33a8, v54
	v_fmamk_f16 v108, v39, 0xbbc4, v58
	v_add_f16_e32 v114, v114, v115
	v_fmamk_f16 v115, v38, 0x388b, v47
	v_add_f16_e32 v113, v113, v4
	v_fmac_f16_e32 v62, 0xb94e, v41
	v_add_f16_e32 v27, v27, v110
	v_fmamk_f16 v110, v37, 0x33a8, v84
	v_add_f16_e32 v16, v16, v17
	v_add_f16_e32 v18, v18, v20
	v_mul_f16_e32 v65, 0xbbc4, v45
	v_mul_f16_e32 v74, 0xbbc4, v43
	v_fmamk_f16 v107, v40, 0xb770, v55
	v_fmamk_f16 v109, v38, 0x3b15, v59
	v_add_f16_e32 v23, v106, v5
	v_fmamk_f16 v106, v41, 0x3bf1, v73
	v_add_f16_e32 v25, v108, v4
	v_add_f16_e32 v113, v113, v115
	v_fmac_f16_e32 v63, 0x3bf1, v40
	v_add_f16_e32 v62, v62, v5
	v_fmac_f16_e32 v69, 0xbb7b, v41
	v_add_f16_e32 v110, v111, v110
	v_fmamk_f16 v111, v36, 0x2fb7, v48
	v_add_f16_e32 v10, v10, v16
	v_add_f16_e32 v15, v15, v18
	v_mul_f16_e32 v56, 0xb9fd, v44
	v_mul_f16_e32 v61, 0x3a95, v49
	;; [unrolled: 1-line block ×10, first 2 shown]
	v_fmamk_f16 v108, v40, 0x33a8, v74
	v_add_f16_e32 v23, v23, v107
	v_fmamk_f16 v107, v39, 0x2fb7, v75
	v_add_f16_e32 v25, v25, v109
	v_add_f16_e32 v106, v106, v5
	;; [unrolled: 1-line block ×3, first 2 shown]
	v_fmac_f16_e32 v70, 0x394e, v40
	v_add_f16_e32 v69, v69, v5
	v_fmamk_f16 v22, v36, 0xb9fd, v60
	v_fmac_f16_e32 v64, 0xba95, v37
	v_add_f16_e32 v111, v113, v111
	v_fmamk_f16 v113, v35, 0xb3a8, v65
	v_add_f16_e32 v9, v9, v10
	v_add_f16_e32 v10, v14, v15
	v_mul_f16_e32 v43, 0x388b, v43
	v_mul_f16_e32 v97, 0x33a8, v53
	;; [unrolled: 1-line block ×3, first 2 shown]
	v_fmamk_f16 v109, v38, 0xbbc4, v76
	v_add_f16_e32 v107, v107, v4
	v_add_f16_e32 v106, v106, v108
	v_fmamk_f16 v108, v41, 0x3770, v42
	v_add_f16_e32 v69, v69, v70
	v_fmamk_f16 v70, v37, 0x394e, v56
	;; [unrolled: 2-line block ×4, first 2 shown]
	v_fmamk_f16 v21, v35, 0xb94e, v90
	v_add_f16_e32 v24, v24, v113
	v_fmamk_f16 v113, v34, 0xb5ac, v49
	v_add_f16_e32 v8, v8, v9
	v_add_f16_e32 v9, v13, v10
	v_mul_f16_e32 v82, 0xb5ac, v44
	v_mul_f16_e32 v44, 0x2fb7, v44
	v_add_f16_e32 v107, v107, v109
	v_fmamk_f16 v109, v40, 0x3a95, v43
	v_add_f16_e32 v108, v108, v5
	v_fmac_f16_e32 v54, 0xb3a8, v41
	v_fma_f16 v58, v39, 0xbbc4, -v58
	v_mul_f16_e32 v63, 0x3b15, v51
	v_add_f16_e32 v23, v23, v70
	v_fmamk_f16 v70, v36, 0x388b, v68
	v_add_f16_e32 v25, v26, v25
	v_fmamk_f16 v26, v36, 0xb5ac, v83
	v_add_f16_e32 v27, v27, v64
	v_add_f16_e32 v21, v110, v21
	v_fmamk_f16 v110, v33, 0xbbc4, v97
	v_add_f16_e32 v111, v111, v113
	v_fmamk_f16 v113, v32, 0xbbf1, v100
	v_add_f16_e32 v7, v7, v8
	v_add_f16_e32 v8, v12, v9
	;; [unrolled: 1-line block ×3, first 2 shown]
	v_fmac_f16_e32 v55, 0x3770, v40
	v_add_f16_e32 v54, v54, v5
	v_fma_f16 v59, v38, 0x3b15, -v59
	v_add_f16_e32 v58, v58, v4
	v_fma_f16 v66, v39, 0xb9fd, -v66
	v_add_f16_e32 v70, v112, v70
	v_fmamk_f16 v112, v37, 0xbb7b, v82
	v_add_f16_e32 v26, v107, v26
	v_fmamk_f16 v107, v37, 0x3bf1, v44
	;; [unrolled: 2-line block ×3, first 2 shown]
	v_add_f16_e32 v21, v21, v113
	v_add_f16_e32 v6, v6, v7
	;; [unrolled: 1-line block ×3, first 2 shown]
	v_fma_f16 v11, v39, 0xb5ac, -v71
	v_mul_f16_e32 v57, 0x388b, v45
	v_mul_f16_e32 v86, 0x2fb7, v45
	;; [unrolled: 1-line block ×4, first 2 shown]
	v_add_f16_e32 v54, v54, v55
	v_add_f16_e32 v58, v58, v59
	v_fma_f16 v67, v38, 0x2fb7, -v67
	v_add_f16_e32 v66, v66, v4
	v_add_f16_e32 v106, v106, v112
	v_fmamk_f16 v112, v36, 0xbbc4, v85
	v_fmac_f16_e32 v56, 0xb94e, v37
	v_fma_f16 v60, v36, 0xb9fd, -v60
	v_add_f16_e32 v107, v108, v107
	v_fmamk_f16 v108, v34, 0x388b, v61
	v_add_f16_e32 v10, v21, v110
	v_add_f16_e32 v11, v11, v4
	v_fma_f16 v21, v38, 0xb9fd, -v72
	v_mul_f16_e32 v92, 0xb5ac, v50
	v_mul_f16_e32 v93, 0xbb7b, v53
	v_mul_f16_e32 v94, 0x3b15, v50
	v_mul_f16_e32 v96, 0xbbc4, v50
	v_mul_f16_e32 v99, 0xba95, v53
	v_add_f16_e32 v66, v66, v67
	v_fma_f16 v68, v36, 0x388b, -v68
	v_add_f16_e32 v112, v114, v112
	v_fmamk_f16 v114, v35, 0xba95, v57
	v_add_f16_e32 v54, v54, v56
	v_fmamk_f16 v56, v34, 0xbbc4, v28
	;; [unrolled: 2-line block ×3, first 2 shown]
	v_fmamk_f16 v19, v34, 0x3b15, v89
	v_add_f16_e32 v22, v22, v108
	v_fmamk_f16 v108, v35, 0x3b7b, v45
	v_fmac_f16_e32 v57, 0x3a95, v35
	v_fma_f16 v61, v34, 0x388b, -v61
	v_add_f16_e32 v11, v11, v21
	v_fma_f16 v21, v36, 0x3b15, -v81
	v_mul_f16_e32 v95, 0x3770, v53
	v_mul_f16_e32 v102, 0x2fb7, v51
	;; [unrolled: 1-line block ×5, first 2 shown]
	v_add_f16_e32 v66, v66, v68
	v_fmac_f16_e32 v65, 0x33a8, v35
	v_add_f16_e32 v56, v70, v56
	v_fmamk_f16 v70, v32, 0x3b7b, v92
	v_add_f16_e32 v25, v25, v60
	v_fmamk_f16 v60, v33, 0xb5ac, v93
	v_fmamk_f16 v64, v32, 0xb770, v94
	v_add_f16_e32 v19, v26, v19
	v_fmamk_f16 v26, v32, 0xb3a8, v96
	v_add_f16_e32 v107, v107, v108
	;; [unrolled: 2-line block ×3, first 2 shown]
	v_fmac_f16_e32 v92, 0xbb7b, v32
	v_fma_f16 v93, v33, 0xb5ac, -v93
	v_fma_f16 v28, v34, 0xbbc4, -v28
	v_add_f16_e32 v58, v58, v61
	v_add_f16_e32 v11, v11, v21
	v_fma_f16 v21, v34, 0x2fb7, -v87
	v_mul_f16_e32 v105, 0xbb7b, v52
	v_fmamk_f16 v61, v31, 0xbbf1, v102
	v_add_f16_e32 v62, v62, v65
	v_fmamk_f16 v65, v30, 0x2fb7, v103
	v_add_f16_e32 v28, v66, v28
	v_add_f16_e32 v24, v24, v64
	v_fmamk_f16 v64, v30, 0x388b, v115
	v_add_f16_e32 v25, v25, v26
	v_fmamk_f16 v26, v30, 0xb9fd, v59
	v_add_f16_e32 v19, v19, v108
	v_fmac_f16_e32 v102, 0x3bf1, v31
	v_fma_f16 v103, v30, 0x2fb7, -v103
	v_fmac_f16_e32 v29, 0x3770, v37
	v_add_f16_e32 v16, v54, v92
	v_add_f16_e32 v18, v58, v93
	v_fma_f16 v8, v33, 0x3b15, -v95
	v_fmac_f16_e32 v73, 0xbbf1, v41
	v_add_f16_e32 v11, v11, v21
	v_fma_f16 v21, v33, 0xbbc4, -v97
	v_add_f16_e32 v14, v27, v64
	v_add_f16_e32 v19, v19, v26
	;; [unrolled: 1-line block ×6, first 2 shown]
	v_fma_f16 v26, v30, 0xb5ac, -v105
	v_add_f16_e32 v27, v73, v5
	v_fmac_f16_e32 v74, 0xb3a8, v40
	v_add_f16_e32 v11, v11, v21
	v_fma_f16 v29, v30, 0x388b, -v115
	v_add_f16_e32 v8, v8, v26
	v_fmac_f16_e32 v77, 0xba95, v41
	v_add_f16_e32 v26, v27, v74
	v_fma_f16 v27, v39, 0x2fb7, -v75
	v_add_f16_e32 v11, v11, v29
	v_fma_f16 v29, v39, 0x388b, -v79
	v_add_f16_e32 v28, v77, v5
	v_fmac_f16_e32 v78, 0xbb7b, v40
	v_add_f16_e32 v21, v27, v4
	v_fma_f16 v27, v38, 0xbbc4, -v76
	v_fmac_f16_e32 v42, 0xb770, v41
	v_add_f16_e32 v29, v29, v4
	v_fma_f16 v41, v38, 0xb5ac, -v80
	v_fma_f16 v39, v39, 0x3b15, -v46
	v_fmac_f16_e32 v82, 0x3b7b, v37
	v_add_f16_e32 v21, v21, v27
	v_fma_f16 v27, v36, 0xb5ac, -v83
	v_add_f16_e32 v28, v28, v78
	v_fmac_f16_e32 v84, 0xb3a8, v37
	v_add_f16_e32 v5, v42, v5
	v_fmac_f16_e32 v43, 0xba95, v40
	v_add_f16_e32 v29, v29, v41
	v_fma_f16 v40, v36, 0xbbc4, -v85
	v_fmac_f16_e32 v44, 0xbbf1, v37
	v_add_f16_e32 v4, v39, v4
	v_fma_f16 v37, v38, 0x388b, -v47
	v_mul_f16_e32 v98, 0x388b, v50
	v_mul_f16_e32 v101, 0x3bf1, v53
	;; [unrolled: 1-line block ×4, first 2 shown]
	v_fmamk_f16 v68, v35, 0xb770, v88
	v_add_f16_e32 v23, v23, v114
	v_fmamk_f16 v114, v34, 0xb9fd, v91
	v_fmac_f16_e32 v86, 0xbbf1, v35
	v_fmac_f16_e32 v88, 0x3770, v35
	v_add_f16_e32 v21, v21, v27
	v_fma_f16 v27, v34, 0x3b15, -v89
	v_add_f16_e32 v28, v28, v84
	v_fmac_f16_e32 v90, 0x394e, v35
	v_add_f16_e32 v5, v5, v43
	v_add_f16_e32 v29, v29, v40
	v_fma_f16 v38, v34, 0xb9fd, -v91
	v_fmac_f16_e32 v45, 0xbb7b, v35
	v_add_f16_e32 v4, v4, v37
	v_fma_f16 v35, v36, 0x2fb7, -v48
	v_mul_f16_e32 v104, 0xb5ac, v51
	v_mul_f16_e32 v109, 0x388b, v51
	;; [unrolled: 1-line block ×6, first 2 shown]
	v_add_f16_e32 v68, v106, v68
	v_add_f16_e32 v112, v112, v114
	v_fmamk_f16 v114, v32, 0x3a95, v98
	v_fmamk_f16 v17, v33, 0x2fb7, v101
	;; [unrolled: 1-line block ×4, first 2 shown]
	v_add_f16_e32 v26, v26, v82
	v_fmamk_f16 v106, v33, 0x3b15, v95
	v_fmac_f16_e32 v94, 0x3770, v32
	v_fmac_f16_e32 v96, 0x33a8, v32
	;; [unrolled: 1-line block ×3, first 2 shown]
	v_add_f16_e32 v21, v21, v27
	v_fma_f16 v27, v33, 0x388b, -v99
	v_add_f16_e32 v28, v28, v90
	v_fmac_f16_e32 v100, 0x3bf1, v32
	v_add_f16_e32 v5, v5, v44
	v_add_f16_e32 v29, v29, v38
	v_fma_f16 v36, v33, 0x2fb7, -v101
	v_fmac_f16_e32 v50, 0xb94e, v32
	v_add_f16_e32 v4, v4, v35
	v_fma_f16 v32, v34, 0xb5ac, -v49
	v_add_f16_e32 v68, v68, v114
	v_fmamk_f16 v114, v30, 0x3b15, v67
	v_fmamk_f16 v108, v31, 0x33a8, v51
	;; [unrolled: 1-line block ×3, first 2 shown]
	v_add_f16_e32 v17, v112, v17
	v_add_f16_e32 v20, v107, v20
	;; [unrolled: 1-line block ×6, first 2 shown]
	v_fmamk_f16 v106, v31, 0x394e, v55
	v_fmamk_f16 v66, v31, 0x3b7b, v104
	v_add_f16_e32 v22, v22, v60
	v_fmamk_f16 v60, v31, 0xba95, v109
	v_fmac_f16_e32 v104, 0xbb7b, v31
	v_fmac_f16_e32 v109, 0x3a95, v31
	;; [unrolled: 1-line block ×3, first 2 shown]
	v_add_f16_e32 v21, v21, v27
	v_fma_f16 v27, v30, 0xb9fd, -v59
	v_add_f16_e32 v28, v28, v100
	v_fmac_f16_e32 v63, 0x3770, v31
	v_add_f16_e32 v5, v5, v45
	v_add_f16_e32 v29, v29, v36
	v_fma_f16 v34, v30, 0x3b15, -v67
	v_fmac_f16_e32 v51, 0xb3a8, v31
	v_add_f16_e32 v4, v4, v32
	v_fma_f16 v31, v33, 0xb9fd, -v53
	v_add_f16_e32 v23, v23, v70
	v_fmamk_f16 v70, v30, 0xb5ac, v105
	v_add_f16_e32 v54, v62, v94
	v_add_f16_e32 v13, v17, v114
	;; [unrolled: 1-line block ×13, first 2 shown]
	v_fma_f16 v29, v30, 0xbbc4, -v52
	v_add_f16_e32 v23, v23, v61
	v_add_f16_e32 v22, v22, v65
	;; [unrolled: 1-line block ×5, first 2 shown]
	v_pack_b32_f16 v2, v6, v7
	v_add_f16_e32 v18, v18, v109
	v_pack_b32_f16 v3, v9, v17
	v_add_f16_e32 v26, v26, v55
	v_pack_b32_f16 v6, v13, v10
	v_pack_b32_f16 v7, v19, v15
	v_add_f16_e32 v5, v5, v51
	v_add_f16_e32 v4, v4, v29
	v_pack_b32_f16 v9, v14, v25
	v_pack_b32_f16 v10, v56, v24
	;; [unrolled: 1-line block ×4, first 2 shown]
	s_clause 0x7
	global_store_b32 v[0:1], v2, off
	global_store_b32 v[0:1], v3, off offset:312
	global_store_b32 v[0:1], v6, off offset:624
	;; [unrolled: 1-line block ×7, first 2 shown]
	v_pack_b32_f16 v2, v8, v20
	v_pack_b32_f16 v3, v11, v18
	;; [unrolled: 1-line block ×5, first 2 shown]
	s_clause 0x4
	global_store_b32 v[0:1], v2, off offset:2496
	global_store_b32 v[0:1], v3, off offset:2808
	;; [unrolled: 1-line block ×5, first 2 shown]
.LBB0_17:
	s_nop 0
	s_sendmsg sendmsg(MSG_DEALLOC_VGPRS)
	s_endpgm
	.section	.rodata,"a",@progbits
	.p2align	6, 0x0
	.amdhsa_kernel fft_rtc_back_len1014_factors_13_6_13_wgs_156_tpt_78_half_ip_CI_unitstride_sbrr_dirReg
		.amdhsa_group_segment_fixed_size 0
		.amdhsa_private_segment_fixed_size 0
		.amdhsa_kernarg_size 88
		.amdhsa_user_sgpr_count 15
		.amdhsa_user_sgpr_dispatch_ptr 0
		.amdhsa_user_sgpr_queue_ptr 0
		.amdhsa_user_sgpr_kernarg_segment_ptr 1
		.amdhsa_user_sgpr_dispatch_id 0
		.amdhsa_user_sgpr_private_segment_size 0
		.amdhsa_wavefront_size32 1
		.amdhsa_uses_dynamic_stack 0
		.amdhsa_enable_private_segment 0
		.amdhsa_system_sgpr_workgroup_id_x 1
		.amdhsa_system_sgpr_workgroup_id_y 0
		.amdhsa_system_sgpr_workgroup_id_z 0
		.amdhsa_system_sgpr_workgroup_info 0
		.amdhsa_system_vgpr_workitem_id 0
		.amdhsa_next_free_vgpr 116
		.amdhsa_next_free_sgpr 21
		.amdhsa_reserve_vcc 1
		.amdhsa_float_round_mode_32 0
		.amdhsa_float_round_mode_16_64 0
		.amdhsa_float_denorm_mode_32 3
		.amdhsa_float_denorm_mode_16_64 3
		.amdhsa_dx10_clamp 1
		.amdhsa_ieee_mode 1
		.amdhsa_fp16_overflow 0
		.amdhsa_workgroup_processor_mode 1
		.amdhsa_memory_ordered 1
		.amdhsa_forward_progress 0
		.amdhsa_shared_vgpr_count 0
		.amdhsa_exception_fp_ieee_invalid_op 0
		.amdhsa_exception_fp_denorm_src 0
		.amdhsa_exception_fp_ieee_div_zero 0
		.amdhsa_exception_fp_ieee_overflow 0
		.amdhsa_exception_fp_ieee_underflow 0
		.amdhsa_exception_fp_ieee_inexact 0
		.amdhsa_exception_int_div_zero 0
	.end_amdhsa_kernel
	.text
.Lfunc_end0:
	.size	fft_rtc_back_len1014_factors_13_6_13_wgs_156_tpt_78_half_ip_CI_unitstride_sbrr_dirReg, .Lfunc_end0-fft_rtc_back_len1014_factors_13_6_13_wgs_156_tpt_78_half_ip_CI_unitstride_sbrr_dirReg
                                        ; -- End function
	.section	.AMDGPU.csdata,"",@progbits
; Kernel info:
; codeLenInByte = 9912
; NumSgprs: 23
; NumVgprs: 116
; ScratchSize: 0
; MemoryBound: 0
; FloatMode: 240
; IeeeMode: 1
; LDSByteSize: 0 bytes/workgroup (compile time only)
; SGPRBlocks: 2
; VGPRBlocks: 14
; NumSGPRsForWavesPerEU: 23
; NumVGPRsForWavesPerEU: 116
; Occupancy: 12
; WaveLimiterHint : 1
; COMPUTE_PGM_RSRC2:SCRATCH_EN: 0
; COMPUTE_PGM_RSRC2:USER_SGPR: 15
; COMPUTE_PGM_RSRC2:TRAP_HANDLER: 0
; COMPUTE_PGM_RSRC2:TGID_X_EN: 1
; COMPUTE_PGM_RSRC2:TGID_Y_EN: 0
; COMPUTE_PGM_RSRC2:TGID_Z_EN: 0
; COMPUTE_PGM_RSRC2:TIDIG_COMP_CNT: 0
	.text
	.p2alignl 7, 3214868480
	.fill 96, 4, 3214868480
	.type	__hip_cuid_15b8f02bf5167eb0,@object ; @__hip_cuid_15b8f02bf5167eb0
	.section	.bss,"aw",@nobits
	.globl	__hip_cuid_15b8f02bf5167eb0
__hip_cuid_15b8f02bf5167eb0:
	.byte	0                               ; 0x0
	.size	__hip_cuid_15b8f02bf5167eb0, 1

	.ident	"AMD clang version 19.0.0git (https://github.com/RadeonOpenCompute/llvm-project roc-6.4.0 25133 c7fe45cf4b819c5991fe208aaa96edf142730f1d)"
	.section	".note.GNU-stack","",@progbits
	.addrsig
	.addrsig_sym __hip_cuid_15b8f02bf5167eb0
	.amdgpu_metadata
---
amdhsa.kernels:
  - .args:
      - .actual_access:  read_only
        .address_space:  global
        .offset:         0
        .size:           8
        .value_kind:     global_buffer
      - .offset:         8
        .size:           8
        .value_kind:     by_value
      - .actual_access:  read_only
        .address_space:  global
        .offset:         16
        .size:           8
        .value_kind:     global_buffer
      - .actual_access:  read_only
        .address_space:  global
        .offset:         24
        .size:           8
        .value_kind:     global_buffer
      - .offset:         32
        .size:           8
        .value_kind:     by_value
      - .actual_access:  read_only
        .address_space:  global
        .offset:         40
        .size:           8
        .value_kind:     global_buffer
      - .actual_access:  read_only
        .address_space:  global
        .offset:         48
        .size:           8
        .value_kind:     global_buffer
      - .offset:         56
        .size:           4
        .value_kind:     by_value
      - .actual_access:  read_only
        .address_space:  global
        .offset:         64
        .size:           8
        .value_kind:     global_buffer
      - .actual_access:  read_only
        .address_space:  global
        .offset:         72
        .size:           8
        .value_kind:     global_buffer
      - .address_space:  global
        .offset:         80
        .size:           8
        .value_kind:     global_buffer
    .group_segment_fixed_size: 0
    .kernarg_segment_align: 8
    .kernarg_segment_size: 88
    .language:       OpenCL C
    .language_version:
      - 2
      - 0
    .max_flat_workgroup_size: 156
    .name:           fft_rtc_back_len1014_factors_13_6_13_wgs_156_tpt_78_half_ip_CI_unitstride_sbrr_dirReg
    .private_segment_fixed_size: 0
    .sgpr_count:     23
    .sgpr_spill_count: 0
    .symbol:         fft_rtc_back_len1014_factors_13_6_13_wgs_156_tpt_78_half_ip_CI_unitstride_sbrr_dirReg.kd
    .uniform_work_group_size: 1
    .uses_dynamic_stack: false
    .vgpr_count:     116
    .vgpr_spill_count: 0
    .wavefront_size: 32
    .workgroup_processor_mode: 1
amdhsa.target:   amdgcn-amd-amdhsa--gfx1100
amdhsa.version:
  - 1
  - 2
...

	.end_amdgpu_metadata
